;; amdgpu-corpus repo=ROCm/rocFFT kind=compiled arch=gfx1030 opt=O3
	.text
	.amdgcn_target "amdgcn-amd-amdhsa--gfx1030"
	.amdhsa_code_object_version 6
	.protected	fft_rtc_fwd_len416_factors_13_2_16_wgs_64_tpt_32_half_op_CI_CI_unitstride_sbrr_C2R_dirReg ; -- Begin function fft_rtc_fwd_len416_factors_13_2_16_wgs_64_tpt_32_half_op_CI_CI_unitstride_sbrr_C2R_dirReg
	.globl	fft_rtc_fwd_len416_factors_13_2_16_wgs_64_tpt_32_half_op_CI_CI_unitstride_sbrr_C2R_dirReg
	.p2align	8
	.type	fft_rtc_fwd_len416_factors_13_2_16_wgs_64_tpt_32_half_op_CI_CI_unitstride_sbrr_C2R_dirReg,@function
fft_rtc_fwd_len416_factors_13_2_16_wgs_64_tpt_32_half_op_CI_CI_unitstride_sbrr_C2R_dirReg: ; @fft_rtc_fwd_len416_factors_13_2_16_wgs_64_tpt_32_half_op_CI_CI_unitstride_sbrr_C2R_dirReg
; %bb.0:
	s_clause 0x2
	s_load_dwordx4 s[12:15], s[4:5], 0x0
	s_load_dwordx4 s[8:11], s[4:5], 0x58
	;; [unrolled: 1-line block ×3, first 2 shown]
	v_lshrrev_b32_e32 v1, 5, v0
	v_mov_b32_e32 v3, 0
	v_mov_b32_e32 v7, 0
	;; [unrolled: 1-line block ×3, first 2 shown]
	v_lshl_or_b32 v9, s6, 1, v1
	v_mov_b32_e32 v10, v3
	s_waitcnt lgkmcnt(0)
	v_cmp_lt_u64_e64 s0, s[14:15], 2
	s_and_b32 vcc_lo, exec_lo, s0
	s_cbranch_vccnz .LBB0_8
; %bb.1:
	s_load_dwordx2 s[0:1], s[4:5], 0x10
	v_mov_b32_e32 v7, 0
	v_mov_b32_e32 v8, 0
	s_add_u32 s2, s18, 8
	s_addc_u32 s3, s19, 0
	v_mov_b32_e32 v1, v7
	s_add_u32 s6, s16, 8
	v_mov_b32_e32 v2, v8
	s_addc_u32 s7, s17, 0
	s_mov_b64 s[22:23], 1
	s_waitcnt lgkmcnt(0)
	s_add_u32 s20, s0, 8
	s_addc_u32 s21, s1, 0
.LBB0_2:                                ; =>This Inner Loop Header: Depth=1
	s_load_dwordx2 s[24:25], s[20:21], 0x0
                                        ; implicit-def: $vgpr5_vgpr6
	s_mov_b32 s0, exec_lo
	s_waitcnt lgkmcnt(0)
	v_or_b32_e32 v4, s25, v10
	v_cmpx_ne_u64_e32 0, v[3:4]
	s_xor_b32 s1, exec_lo, s0
	s_cbranch_execz .LBB0_4
; %bb.3:                                ;   in Loop: Header=BB0_2 Depth=1
	v_cvt_f32_u32_e32 v4, s24
	v_cvt_f32_u32_e32 v5, s25
	s_sub_u32 s0, 0, s24
	s_subb_u32 s26, 0, s25
	v_fmac_f32_e32 v4, 0x4f800000, v5
	v_rcp_f32_e32 v4, v4
	v_mul_f32_e32 v4, 0x5f7ffffc, v4
	v_mul_f32_e32 v5, 0x2f800000, v4
	v_trunc_f32_e32 v5, v5
	v_fmac_f32_e32 v4, 0xcf800000, v5
	v_cvt_u32_f32_e32 v5, v5
	v_cvt_u32_f32_e32 v4, v4
	v_mul_lo_u32 v6, s0, v5
	v_mul_hi_u32 v11, s0, v4
	v_mul_lo_u32 v12, s26, v4
	v_add_nc_u32_e32 v6, v11, v6
	v_mul_lo_u32 v11, s0, v4
	v_add_nc_u32_e32 v6, v6, v12
	v_mul_hi_u32 v12, v4, v11
	v_mul_lo_u32 v13, v4, v6
	v_mul_hi_u32 v14, v4, v6
	v_mul_hi_u32 v15, v5, v11
	v_mul_lo_u32 v11, v5, v11
	v_mul_hi_u32 v16, v5, v6
	v_mul_lo_u32 v6, v5, v6
	v_add_co_u32 v12, vcc_lo, v12, v13
	v_add_co_ci_u32_e32 v13, vcc_lo, 0, v14, vcc_lo
	v_add_co_u32 v11, vcc_lo, v12, v11
	v_add_co_ci_u32_e32 v11, vcc_lo, v13, v15, vcc_lo
	v_add_co_ci_u32_e32 v12, vcc_lo, 0, v16, vcc_lo
	v_add_co_u32 v6, vcc_lo, v11, v6
	v_add_co_ci_u32_e32 v11, vcc_lo, 0, v12, vcc_lo
	v_add_co_u32 v4, vcc_lo, v4, v6
	v_add_co_ci_u32_e32 v5, vcc_lo, v5, v11, vcc_lo
	v_mul_hi_u32 v6, s0, v4
	v_mul_lo_u32 v12, s26, v4
	v_mul_lo_u32 v11, s0, v5
	v_add_nc_u32_e32 v6, v6, v11
	v_mul_lo_u32 v11, s0, v4
	v_add_nc_u32_e32 v6, v6, v12
	v_mul_hi_u32 v12, v4, v11
	v_mul_lo_u32 v13, v4, v6
	v_mul_hi_u32 v14, v4, v6
	v_mul_hi_u32 v15, v5, v11
	v_mul_lo_u32 v11, v5, v11
	v_mul_hi_u32 v16, v5, v6
	v_mul_lo_u32 v6, v5, v6
	v_add_co_u32 v12, vcc_lo, v12, v13
	v_add_co_ci_u32_e32 v13, vcc_lo, 0, v14, vcc_lo
	v_add_co_u32 v11, vcc_lo, v12, v11
	v_add_co_ci_u32_e32 v11, vcc_lo, v13, v15, vcc_lo
	v_add_co_ci_u32_e32 v12, vcc_lo, 0, v16, vcc_lo
	v_add_co_u32 v6, vcc_lo, v11, v6
	v_add_co_ci_u32_e32 v11, vcc_lo, 0, v12, vcc_lo
	v_add_co_u32 v6, vcc_lo, v4, v6
	v_add_co_ci_u32_e32 v13, vcc_lo, v5, v11, vcc_lo
	v_mul_hi_u32 v15, v9, v6
	v_mad_u64_u32 v[11:12], null, v10, v6, 0
	v_mad_u64_u32 v[4:5], null, v9, v13, 0
	;; [unrolled: 1-line block ×3, first 2 shown]
	v_add_co_u32 v4, vcc_lo, v15, v4
	v_add_co_ci_u32_e32 v5, vcc_lo, 0, v5, vcc_lo
	v_add_co_u32 v4, vcc_lo, v4, v11
	v_add_co_ci_u32_e32 v4, vcc_lo, v5, v12, vcc_lo
	v_add_co_ci_u32_e32 v5, vcc_lo, 0, v14, vcc_lo
	v_add_co_u32 v11, vcc_lo, v4, v13
	v_add_co_ci_u32_e32 v6, vcc_lo, 0, v5, vcc_lo
	v_mul_lo_u32 v12, s25, v11
	v_mad_u64_u32 v[4:5], null, s24, v11, 0
	v_mul_lo_u32 v13, s24, v6
	v_sub_co_u32 v4, vcc_lo, v9, v4
	v_add3_u32 v5, v5, v13, v12
	v_sub_nc_u32_e32 v12, v10, v5
	v_subrev_co_ci_u32_e64 v12, s0, s25, v12, vcc_lo
	v_add_co_u32 v13, s0, v11, 2
	v_add_co_ci_u32_e64 v14, s0, 0, v6, s0
	v_sub_co_u32 v15, s0, v4, s24
	v_sub_co_ci_u32_e32 v5, vcc_lo, v10, v5, vcc_lo
	v_subrev_co_ci_u32_e64 v12, s0, 0, v12, s0
	v_cmp_le_u32_e32 vcc_lo, s24, v15
	v_cmp_eq_u32_e64 s0, s25, v5
	v_cndmask_b32_e64 v15, 0, -1, vcc_lo
	v_cmp_le_u32_e32 vcc_lo, s25, v12
	v_cndmask_b32_e64 v16, 0, -1, vcc_lo
	v_cmp_le_u32_e32 vcc_lo, s24, v4
	;; [unrolled: 2-line block ×3, first 2 shown]
	v_cndmask_b32_e64 v17, 0, -1, vcc_lo
	v_cmp_eq_u32_e32 vcc_lo, s25, v12
	v_cndmask_b32_e64 v4, v17, v4, s0
	v_cndmask_b32_e32 v12, v16, v15, vcc_lo
	v_add_co_u32 v15, vcc_lo, v11, 1
	v_add_co_ci_u32_e32 v16, vcc_lo, 0, v6, vcc_lo
	v_cmp_ne_u32_e32 vcc_lo, 0, v12
	v_cndmask_b32_e32 v5, v16, v14, vcc_lo
	v_cndmask_b32_e32 v12, v15, v13, vcc_lo
	v_cmp_ne_u32_e32 vcc_lo, 0, v4
	v_cndmask_b32_e32 v6, v6, v5, vcc_lo
	v_cndmask_b32_e32 v5, v11, v12, vcc_lo
.LBB0_4:                                ;   in Loop: Header=BB0_2 Depth=1
	s_andn2_saveexec_b32 s0, s1
	s_cbranch_execz .LBB0_6
; %bb.5:                                ;   in Loop: Header=BB0_2 Depth=1
	v_cvt_f32_u32_e32 v4, s24
	s_sub_i32 s1, 0, s24
	v_rcp_iflag_f32_e32 v4, v4
	v_mul_f32_e32 v4, 0x4f7ffffe, v4
	v_cvt_u32_f32_e32 v4, v4
	v_mul_lo_u32 v5, s1, v4
	v_mul_hi_u32 v5, v4, v5
	v_add_nc_u32_e32 v4, v4, v5
	v_mul_hi_u32 v4, v9, v4
	v_mul_lo_u32 v5, v4, s24
	v_add_nc_u32_e32 v6, 1, v4
	v_sub_nc_u32_e32 v5, v9, v5
	v_subrev_nc_u32_e32 v11, s24, v5
	v_cmp_le_u32_e32 vcc_lo, s24, v5
	v_cndmask_b32_e32 v5, v5, v11, vcc_lo
	v_cndmask_b32_e32 v4, v4, v6, vcc_lo
	v_cmp_le_u32_e32 vcc_lo, s24, v5
	v_add_nc_u32_e32 v6, 1, v4
	v_cndmask_b32_e32 v5, v4, v6, vcc_lo
	v_mov_b32_e32 v6, v3
.LBB0_6:                                ;   in Loop: Header=BB0_2 Depth=1
	s_or_b32 exec_lo, exec_lo, s0
	v_mul_lo_u32 v4, v6, s24
	v_mul_lo_u32 v13, v5, s25
	s_load_dwordx2 s[0:1], s[6:7], 0x0
	v_mad_u64_u32 v[11:12], null, v5, s24, 0
	s_load_dwordx2 s[24:25], s[2:3], 0x0
	s_add_u32 s22, s22, 1
	s_addc_u32 s23, s23, 0
	s_add_u32 s2, s2, 8
	s_addc_u32 s3, s3, 0
	s_add_u32 s6, s6, 8
	v_add3_u32 v4, v12, v13, v4
	v_sub_co_u32 v9, vcc_lo, v9, v11
	s_addc_u32 s7, s7, 0
	s_add_u32 s20, s20, 8
	v_sub_co_ci_u32_e32 v4, vcc_lo, v10, v4, vcc_lo
	s_addc_u32 s21, s21, 0
	s_waitcnt lgkmcnt(0)
	v_mul_lo_u32 v10, s0, v4
	v_mul_lo_u32 v11, s1, v9
	v_mad_u64_u32 v[7:8], null, s0, v9, v[7:8]
	v_mul_lo_u32 v4, s24, v4
	v_mul_lo_u32 v12, s25, v9
	v_mad_u64_u32 v[1:2], null, s24, v9, v[1:2]
	v_cmp_ge_u64_e64 s0, s[22:23], s[14:15]
	v_add3_u32 v8, v11, v8, v10
	v_add3_u32 v2, v12, v2, v4
	s_and_b32 vcc_lo, exec_lo, s0
	s_cbranch_vccnz .LBB0_9
; %bb.7:                                ;   in Loop: Header=BB0_2 Depth=1
	v_mov_b32_e32 v10, v6
	v_mov_b32_e32 v9, v5
	s_branch .LBB0_2
.LBB0_8:
	v_mov_b32_e32 v1, v7
	v_mov_b32_e32 v5, v9
	;; [unrolled: 1-line block ×4, first 2 shown]
.LBB0_9:
	s_load_dwordx2 s[2:3], s[4:5], 0x28
	v_and_b32_e32 v3, 32, v0
	s_lshl_b64 s[4:5], s[14:15], 3
	v_cmp_ne_u32_e64 s0, 0, v3
	v_and_b32_e32 v3, 31, v0
	s_waitcnt lgkmcnt(0)
	v_cmp_gt_u64_e32 vcc_lo, s[2:3], v[5:6]
	v_cmp_le_u64_e64 s1, s[2:3], v[5:6]
	s_add_u32 s2, s18, s4
	s_addc_u32 s3, s19, s5
	s_and_saveexec_b32 s6, s1
	s_xor_b32 s1, exec_lo, s6
; %bb.10:
	v_and_b32_e32 v3, 31, v0
                                        ; implicit-def: $vgpr7_vgpr8
; %bb.11:
	s_or_saveexec_b32 s1, s1
	s_load_dwordx2 s[2:3], s[2:3], 0x0
	v_cndmask_b32_e64 v0, 0, 0x1a1, s0
	v_lshlrev_b32_e32 v16, 2, v0
	s_xor_b32 exec_lo, exec_lo, s1
	s_cbranch_execz .LBB0_15
; %bb.12:
	s_add_u32 s4, s16, s4
	s_addc_u32 s5, s17, s5
	v_lshlrev_b64 v[7:8], 2, v[7:8]
	s_load_dwordx2 s[4:5], s[4:5], 0x0
	s_waitcnt lgkmcnt(0)
	v_mul_lo_u32 v4, s5, v5
	v_mul_lo_u32 v11, s4, v6
	v_mad_u64_u32 v[9:10], null, s4, v5, 0
	s_mov_b32 s4, exec_lo
	v_add3_u32 v10, v10, v11, v4
	v_lshlrev_b32_e32 v11, 2, v3
	v_lshlrev_b64 v[9:10], 2, v[9:10]
	v_add_co_u32 v4, s0, s8, v9
	v_add_co_ci_u32_e64 v9, s0, s9, v10, s0
	v_add_co_u32 v7, s0, v4, v7
	v_add_co_ci_u32_e64 v8, s0, v9, v8, s0
	v_add3_u32 v4, 0, v16, v11
	v_add_co_u32 v9, s0, v7, v11
	v_add_co_ci_u32_e64 v10, s0, 0, v8, s0
	s_clause 0xc
	global_load_dword v12, v[9:10], off
	global_load_dword v13, v[9:10], off offset:128
	global_load_dword v14, v[9:10], off offset:256
	;; [unrolled: 1-line block ×12, first 2 shown]
	v_add_nc_u32_e32 v10, 0x400, v4
	s_waitcnt vmcnt(11)
	ds_write2_b32 v4, v12, v13 offset1:32
	s_waitcnt vmcnt(9)
	ds_write2_b32 v4, v14, v15 offset0:64 offset1:96
	s_waitcnt vmcnt(7)
	ds_write2_b32 v4, v17, v18 offset0:128 offset1:160
	;; [unrolled: 2-line block ×3, first 2 shown]
	s_waitcnt vmcnt(3)
	ds_write2_b32 v10, v21, v22 offset1:32
	s_waitcnt vmcnt(1)
	ds_write2_b32 v10, v23, v24 offset0:64 offset1:96
	s_waitcnt vmcnt(0)
	ds_write_b32 v4, v9 offset:1536
	v_cmpx_eq_u32_e32 31, v3
	s_cbranch_execz .LBB0_14
; %bb.13:
	global_load_dword v7, v[7:8], off offset:1664
	v_mov_b32_e32 v3, 31
	s_waitcnt vmcnt(0)
	ds_write_b32 v4, v7 offset:1540
.LBB0_14:
	s_or_b32 exec_lo, exec_lo, s4
.LBB0_15:
	s_or_b32 exec_lo, exec_lo, s1
	v_lshl_add_u32 v0, v0, 2, 0
	v_lshlrev_b32_e32 v9, 2, v3
	s_waitcnt lgkmcnt(0)
	s_barrier
	buffer_gl0_inv
	s_mov_b32 s1, exec_lo
	v_add_nc_u32_e32 v25, v0, v9
	v_sub_nc_u32_e32 v10, v0, v9
                                        ; implicit-def: $vgpr7_vgpr8
	ds_read_u16 v13, v25
	ds_read_u16 v14, v10 offset:1664
	s_waitcnt lgkmcnt(0)
	v_add_f16_e32 v12, v14, v13
	v_sub_f16_e32 v11, v13, v14
	v_cmpx_ne_u32_e32 0, v3
	s_xor_b32 s1, exec_lo, s1
	s_cbranch_execz .LBB0_17
; %bb.16:
	v_mov_b32_e32 v4, 0
	v_add_f16_e32 v12, v14, v13
	v_sub_f16_e32 v13, v13, v14
	v_lshlrev_b64 v[7:8], 2, v[3:4]
	v_add_co_u32 v7, s0, s12, v7
	v_add_co_ci_u32_e64 v8, s0, s13, v8, s0
	global_load_dword v7, v[7:8], off offset:1612
	ds_read_u16 v8, v10 offset:1666
	ds_read_u16 v11, v25 offset:2
	s_waitcnt lgkmcnt(0)
	v_add_f16_e32 v14, v8, v11
	v_sub_f16_e32 v8, v11, v8
	s_waitcnt vmcnt(0)
	v_lshrrev_b32_e32 v15, 16, v7
	v_fma_f16 v17, -v13, v15, v12
	v_fma_f16 v18, v14, v15, -v8
	v_fma_f16 v11, v14, v15, v8
	v_fma_f16 v12, v13, v15, v12
	v_fmac_f16_e32 v17, v7, v14
	v_fmac_f16_e32 v18, v13, v7
	;; [unrolled: 1-line block ×3, first 2 shown]
	v_fma_f16 v12, -v7, v14, v12
	v_mov_b32_e32 v8, v4
	v_mov_b32_e32 v7, v3
	v_pack_b32_f16 v13, v17, v18
	ds_write_b32 v10, v13 offset:1664
.LBB0_17:
	s_andn2_saveexec_b32 s0, s1
	s_cbranch_execz .LBB0_19
; %bb.18:
	ds_read_b32 v4, v0 offset:832
	v_mov_b32_e32 v7, 0
	v_mov_b32_e32 v8, 0
	s_waitcnt lgkmcnt(0)
	v_pk_mul_f16 v4, 0xc0004000, v4
	ds_write_b32 v0, v4 offset:832
.LBB0_19:
	s_or_b32 exec_lo, exec_lo, s0
	v_lshlrev_b64 v[7:8], 2, v[7:8]
	s_add_u32 s0, s12, 0x64c
	s_addc_u32 s1, s13, 0
	v_perm_b32 v11, v11, v12, 0x5040100
	v_add_co_u32 v7, s0, s0, v7
	v_add_co_ci_u32_e64 v8, s0, s1, v8, s0
	s_mov_b32 s1, exec_lo
	s_clause 0x4
	global_load_dword v4, v[7:8], off offset:128
	global_load_dword v13, v[7:8], off offset:256
	;; [unrolled: 1-line block ×5, first 2 shown]
	ds_write_b32 v25, v11
	ds_read_b32 v11, v25 offset:128
	ds_read_b32 v12, v10 offset:1536
	s_waitcnt lgkmcnt(0)
	v_add_f16_e32 v18, v11, v12
	v_add_f16_sdwa v19, v12, v11 dst_sel:DWORD dst_unused:UNUSED_PAD src0_sel:WORD_1 src1_sel:WORD_1
	v_sub_f16_e32 v20, v11, v12
	v_sub_f16_sdwa v11, v11, v12 dst_sel:DWORD dst_unused:UNUSED_PAD src0_sel:WORD_1 src1_sel:WORD_1
	s_waitcnt vmcnt(4)
	v_lshrrev_b32_e32 v21, 16, v4
	v_fma_f16 v12, v20, v21, v18
	v_fma_f16 v22, v19, v21, v11
	v_fma_f16 v18, -v20, v21, v18
	v_fma_f16 v11, v19, v21, -v11
	v_fma_f16 v12, -v4, v19, v12
	v_fmac_f16_e32 v22, v20, v4
	v_fmac_f16_e32 v18, v4, v19
	;; [unrolled: 1-line block ×3, first 2 shown]
	v_pack_b32_f16 v4, v12, v22
	s_waitcnt vmcnt(3)
	v_lshrrev_b32_e32 v12, 16, v13
	v_pack_b32_f16 v11, v18, v11
	ds_write_b32 v25, v4 offset:128
	ds_write_b32 v10, v11 offset:1536
	ds_read_b32 v4, v25 offset:256
	ds_read_b32 v11, v10 offset:1408
	s_waitcnt lgkmcnt(0)
	v_add_f16_e32 v18, v4, v11
	v_add_f16_sdwa v19, v11, v4 dst_sel:DWORD dst_unused:UNUSED_PAD src0_sel:WORD_1 src1_sel:WORD_1
	v_sub_f16_e32 v20, v4, v11
	v_sub_f16_sdwa v4, v4, v11 dst_sel:DWORD dst_unused:UNUSED_PAD src0_sel:WORD_1 src1_sel:WORD_1
	v_fma_f16 v11, v20, v12, v18
	v_fma_f16 v21, v19, v12, v4
	v_fma_f16 v18, -v20, v12, v18
	v_fma_f16 v4, v19, v12, -v4
	s_waitcnt vmcnt(2)
	v_lshrrev_b32_e32 v12, 16, v14
	v_fma_f16 v11, -v13, v19, v11
	v_fmac_f16_e32 v21, v20, v13
	v_fmac_f16_e32 v18, v13, v19
	v_fmac_f16_e32 v4, v20, v13
	v_pack_b32_f16 v11, v11, v21
	v_pack_b32_f16 v4, v18, v4
	ds_write_b32 v25, v11 offset:256
	ds_write_b32 v10, v4 offset:1408
	ds_read_b32 v4, v25 offset:384
	ds_read_b32 v11, v10 offset:1280
	s_waitcnt lgkmcnt(0)
	v_add_f16_e32 v13, v4, v11
	v_add_f16_sdwa v18, v11, v4 dst_sel:DWORD dst_unused:UNUSED_PAD src0_sel:WORD_1 src1_sel:WORD_1
	v_sub_f16_e32 v19, v4, v11
	v_sub_f16_sdwa v4, v4, v11 dst_sel:DWORD dst_unused:UNUSED_PAD src0_sel:WORD_1 src1_sel:WORD_1
	v_fma_f16 v11, v19, v12, v13
	v_fma_f16 v20, v18, v12, v4
	v_fma_f16 v13, -v19, v12, v13
	v_fma_f16 v4, v18, v12, -v4
	s_waitcnt vmcnt(1)
	v_lshrrev_b32_e32 v12, 16, v15
	v_fma_f16 v11, -v14, v18, v11
	v_fmac_f16_e32 v20, v19, v14
	v_fmac_f16_e32 v13, v14, v18
	v_fmac_f16_e32 v4, v19, v14
	v_pack_b32_f16 v11, v11, v20
	;; [unrolled: 21-line block ×3, first 2 shown]
	v_pack_b32_f16 v4, v13, v4
	ds_write_b32 v25, v11 offset:512
	ds_write_b32 v10, v4 offset:1152
	ds_read_b32 v4, v25 offset:640
	ds_read_b32 v11, v10 offset:1024
	s_waitcnt lgkmcnt(0)
	v_add_f16_e32 v13, v4, v11
	v_add_f16_sdwa v14, v11, v4 dst_sel:DWORD dst_unused:UNUSED_PAD src0_sel:WORD_1 src1_sel:WORD_1
	v_sub_f16_e32 v15, v4, v11
	v_sub_f16_sdwa v4, v4, v11 dst_sel:DWORD dst_unused:UNUSED_PAD src0_sel:WORD_1 src1_sel:WORD_1
	v_fma_f16 v11, v15, v12, v13
	v_fma_f16 v18, v14, v12, v4
	v_fma_f16 v19, -v15, v12, v13
	v_fma_f16 v4, v14, v12, -v4
	v_or_b32_e32 v13, 0xc0, v3
	v_fma_f16 v11, -v17, v14, v11
	v_fmac_f16_e32 v18, v15, v17
	v_fmac_f16_e32 v19, v17, v14
	;; [unrolled: 1-line block ×3, first 2 shown]
	v_pack_b32_f16 v11, v11, v18
	v_pack_b32_f16 v4, v19, v4
	ds_write_b32 v25, v11 offset:640
	ds_write_b32 v10, v4 offset:1024
	v_cmpx_gt_u32_e32 0xd0, v13
	s_cbranch_execz .LBB0_21
; %bb.20:
	global_load_dword v4, v[7:8], off offset:768
	ds_read_b32 v7, v25 offset:768
	ds_read_b32 v8, v10 offset:896
	s_waitcnt lgkmcnt(0)
	v_add_f16_e32 v11, v7, v8
	v_add_f16_sdwa v12, v8, v7 dst_sel:DWORD dst_unused:UNUSED_PAD src0_sel:WORD_1 src1_sel:WORD_1
	v_sub_f16_e32 v14, v7, v8
	v_sub_f16_sdwa v7, v7, v8 dst_sel:DWORD dst_unused:UNUSED_PAD src0_sel:WORD_1 src1_sel:WORD_1
	s_waitcnt vmcnt(0)
	v_lshrrev_b32_e32 v15, 16, v4
	v_fma_f16 v8, v14, v15, v11
	v_fma_f16 v17, v12, v15, v7
	v_fma_f16 v11, -v14, v15, v11
	v_fma_f16 v7, v12, v15, -v7
	v_fma_f16 v8, -v4, v12, v8
	v_fmac_f16_e32 v17, v14, v4
	v_fmac_f16_e32 v11, v4, v12
	v_fmac_f16_e32 v7, v14, v4
	v_pack_b32_f16 v4, v8, v17
	v_pack_b32_f16 v7, v11, v7
	ds_write_b32 v25, v4 offset:768
	ds_write_b32 v10, v7 offset:896
.LBB0_21:
	s_or_b32 exec_lo, exec_lo, s1
	v_add3_u32 v4, 0, v9, v16
	s_waitcnt lgkmcnt(0)
	s_barrier
	buffer_gl0_inv
	s_barrier
	buffer_gl0_inv
	ds_read_b32 v10, v25
	ds_read2_b32 v[19:20], v4 offset0:32 offset1:64
	v_add_nc_u32_e32 v8, 0x400, v4
	v_add_nc_u32_e32 v9, 0x200, v4
	ds_read2_b32 v[21:22], v8 offset0:96 offset1:128
	ds_read2_b32 v[23:24], v4 offset0:96 offset1:128
	;; [unrolled: 1-line block ×5, first 2 shown]
	v_mov_b32_e32 v7, 0xb770
	v_mov_b32_e32 v18, 0xbb7b
	;; [unrolled: 1-line block ×7, first 2 shown]
	v_mad_u32_u24 v11, v3, 48, v4
	s_waitcnt lgkmcnt(0)
	s_barrier
	buffer_gl0_inv
	v_cmp_gt_u32_e64 s0, 16, v3
	v_pk_add_f16 v12, v10, v19
	v_pk_add_f16 v12, v12, v20
	;; [unrolled: 1-line block ×3, first 2 shown]
	v_pk_add_f16 v15, v19, v22 neg_lo:[0,1] neg_hi:[0,1]
	v_pk_add_f16 v17, v21, v20
	v_pk_add_f16 v14, v20, v21 neg_lo:[0,1] neg_hi:[0,1]
	v_pk_add_f16 v12, v12, v23
	v_pk_mul_f16 v19, 0x3b15388b, v35
	v_mul_f16_sdwa v7, v15, v7 dst_sel:DWORD dst_unused:UNUSED_PAD src0_sel:WORD_1 src1_sel:DWORD
	v_lshrrev_b32_e32 v20, 16, v35
	v_mul_f16_e32 v36, 0xba95, v15
	v_pk_add_f16 v12, v12, v24
	v_mul_f16_e32 v38, 0xbbf1, v15
	v_mul_f16_sdwa v39, v15, v18 dst_sel:DWORD dst_unused:UNUSED_PAD src0_sel:WORD_1 src1_sel:DWORD
	v_mul_f16_e32 v40, 0xbb7b, v15
	v_mul_f16_sdwa v41, v15, v33 dst_sel:DWORD dst_unused:UNUSED_PAD src0_sel:WORD_1 src1_sel:DWORD
	v_pk_add_f16 v12, v12, v26
	v_mul_f16_e32 v42, 0xb94e, v15
	v_pk_fma_f16 v44, 0xba95b770, v15, v19 op_sel:[0,0,1] op_sel_hi:[1,1,0] neg_lo:[0,1,0] neg_hi:[0,1,0]
	v_pk_fma_f16 v19, 0xba95b770, v15, v19 op_sel:[0,0,1] op_sel_hi:[1,1,0]
	v_fma_f16 v43, v35, 0x3b15, -v7
	v_pk_add_f16 v12, v12, v27
	v_fmac_f16_e32 v7, 0x3b15, v35
	v_fmamk_f16 v45, v20, 0x388b, v36
	v_fma_f16 v36, v20, 0x388b, -v36
	v_fmamk_f16 v47, v20, 0x2fb7, v38
	v_pk_add_f16 v12, v12, v28
	v_fma_f16 v38, v20, 0x2fb7, -v38
	v_fma_f16 v48, v35, 0xb5ac, -v39
	v_fmamk_f16 v49, v20, 0xb5ac, v40
	v_fmac_f16_e32 v39, 0xb5ac, v35
	v_pk_add_f16 v12, v12, v29
	v_fma_f16 v40, v20, 0xb5ac, -v40
	v_fma_f16 v50, v35, 0xb9fd, -v41
	v_fmamk_f16 v51, v20, 0xb9fd, v42
	v_bfi_b32 v52, 0xffff, v19, v44
	v_pk_add_f16 v12, v12, v30
	v_fma_f16 v20, v20, 0xb9fd, -v42
	v_pk_mul_f16 v42, 0x388bb5ac, v17
	v_mul_f16_sdwa v37, v15, v32 dst_sel:DWORD dst_unused:UNUSED_PAD src0_sel:WORD_1 src1_sel:DWORD
	v_add_f16_e32 v43, v10, v43
	v_pk_add_f16 v12, v12, v31
	v_add_f16_e32 v7, v10, v7
	v_pk_fma_f16 v53, 0xbb7bba95, v14, v42 op_sel:[0,0,1] op_sel_hi:[1,1,0] neg_lo:[0,1,0] neg_hi:[0,1,0]
	v_pk_fma_f16 v42, 0xbb7bba95, v14, v42 op_sel:[0,0,1] op_sel_hi:[1,1,0]
	v_lshrrev_b32_e32 v54, 16, v17
	v_pk_add_f16 v12, v12, v21
	v_add_f16_e32 v21, v10, v39
	v_add_f16_sdwa v39, v10, v40 dst_sel:DWORD dst_unused:UNUSED_PAD src0_sel:WORD_1 src1_sel:DWORD
	v_add_f16_e32 v40, v10, v50
	v_pk_add_f16 v50, v10, v52 op_sel:[1,0] op_sel_hi:[0,1]
	v_pk_add_f16 v12, v12, v22
	v_mul_f16_sdwa v22, v14, v34 dst_sel:DWORD dst_unused:UNUSED_PAD src0_sel:WORD_1 src1_sel:DWORD
	v_mul_f16_e32 v55, 0xbb7b, v14
	v_fma_f16 v46, v35, 0x2fb7, -v37
	v_add_f16_sdwa v45, v10, v45 dst_sel:DWORD dst_unused:UNUSED_PAD src0_sel:WORD_1 src1_sel:DWORD
	v_mul_f16_e32 v58, 0xb3a8, v14
	v_fma_f16 v52, v17, 0x388b, -v22
	v_fmac_f16_e32 v22, 0x388b, v17
	v_fmamk_f16 v57, v54, 0xb5ac, v55
	v_fmac_f16_e32 v37, 0x2fb7, v35
	v_pk_add_f16 v19, v10, v19 op_sel:[1,0] op_sel_hi:[0,1]
	v_add_f16_e32 v43, v52, v43
	v_bfi_b32 v52, 0xffff, v42, v53
	v_add_f16_e32 v7, v22, v7
	v_mul_f16_sdwa v22, v14, v56 dst_sel:DWORD dst_unused:UNUSED_PAD src0_sel:WORD_1 src1_sel:DWORD
	v_add_f16_sdwa v36, v10, v36 dst_sel:DWORD dst_unused:UNUSED_PAD src0_sel:WORD_1 src1_sel:DWORD
	v_add_f16_e32 v46, v10, v46
	v_add_f16_sdwa v47, v10, v47 dst_sel:DWORD dst_unused:UNUSED_PAD src0_sel:WORD_1 src1_sel:DWORD
	v_pk_add_f16 v50, v52, v50
	v_add_f16_e32 v45, v57, v45
	v_fma_f16 v52, v54, 0xb5ac, -v55
	v_fma_f16 v55, v17, 0xbbc4, -v22
	v_fmamk_f16 v57, v54, 0xbbc4, v58
	v_add_f16_e32 v37, v10, v37
	v_add_f16_sdwa v38, v10, v38 dst_sel:DWORD dst_unused:UNUSED_PAD src0_sel:WORD_1 src1_sel:DWORD
	v_pk_add_f16 v19, v42, v19
	v_add_f16_e32 v36, v52, v36
	v_add_f16_e32 v42, v55, v46
	;; [unrolled: 1-line block ×3, first 2 shown]
	v_mul_f16_sdwa v47, v14, v59 dst_sel:DWORD dst_unused:UNUSED_PAD src0_sel:WORD_1 src1_sel:DWORD
	v_fmac_f16_e32 v22, 0xbbc4, v17
	v_fma_f16 v52, v54, 0xbbc4, -v58
	v_mov_b32_e32 v55, 0x3bf1
	v_mul_f16_e32 v57, 0x394e, v14
	v_fmac_f16_e32 v41, 0xb9fd, v35
	v_add_f16_sdwa v49, v10, v49 dst_sel:DWORD dst_unused:UNUSED_PAD src0_sel:WORD_1 src1_sel:DWORD
	v_fma_f16 v58, v17, 0xb9fd, -v47
	v_add_f16_e32 v22, v22, v37
	v_add_f16_e32 v37, v52, v38
	v_mul_f16_sdwa v38, v14, v55 dst_sel:DWORD dst_unused:UNUSED_PAD src0_sel:WORD_1 src1_sel:DWORD
	v_fmamk_f16 v52, v54, 0xb9fd, v57
	v_fmac_f16_e32 v47, 0xb9fd, v17
	v_add_f16_e32 v41, v10, v41
	v_fma_f16 v55, v54, 0xb9fd, -v57
	v_fma_f16 v57, v17, 0x2fb7, -v38
	v_add_f16_e32 v49, v52, v49
	v_mul_f16_e32 v52, 0x3bf1, v14
	v_add_f16_e32 v21, v47, v21
	v_pk_add_f16 v47, v31, v23
	v_fmac_f16_e32 v38, 0x2fb7, v17
	v_pk_add_f16 v23, v23, v31 neg_lo:[0,1] neg_hi:[0,1]
	v_add_f16_sdwa v51, v10, v51 dst_sel:DWORD dst_unused:UNUSED_PAD src0_sel:WORD_1 src1_sel:DWORD
	v_add_f16_e32 v39, v55, v39
	v_fmamk_f16 v55, v54, 0x2fb7, v52
	v_add_f16_e32 v38, v38, v41
	v_mul_f16_sdwa v41, v23, v32 dst_sel:DWORD dst_unused:UNUSED_PAD src0_sel:WORD_1 src1_sel:DWORD
	v_add_f16_sdwa v20, v10, v20 dst_sel:DWORD dst_unused:UNUSED_PAD src0_sel:WORD_1 src1_sel:DWORD
	v_add_f16_e32 v40, v57, v40
	v_fma_f16 v52, v54, 0x2fb7, -v52
	v_pk_mul_f16 v31, 0x2fb7bbc4, v47
	v_add_f16_e32 v51, v55, v51
	v_lshrrev_b32_e32 v54, 16, v47
	v_mul_f16_e32 v55, 0xb3a8, v23
	v_fma_f16 v57, v47, 0x2fb7, -v41
	v_add_f16_e32 v48, v10, v48
	v_add_f16_e32 v20, v52, v20
	v_pk_fma_f16 v52, 0xb3a8bbf1, v23, v31 op_sel:[0,0,1] op_sel_hi:[1,1,0] neg_lo:[0,1,0] neg_hi:[0,1,0]
	v_pk_fma_f16 v31, 0xb3a8bbf1, v23, v31 op_sel:[0,0,1] op_sel_hi:[1,1,0]
	v_fmamk_f16 v60, v54, 0xbbc4, v55
	v_add_f16_e32 v43, v57, v43
	v_fma_f16 v55, v54, 0xbbc4, -v55
	v_mul_f16_e32 v57, 0x3b7b, v23
	v_add_f16_e32 v48, v58, v48
	v_fmac_f16_e32 v41, 0x2fb7, v47
	v_mov_b32_e32 v58, 0x3b7b
	v_bfi_b32 v59, 0xffff, v31, v52
	v_pk_add_f16 v19, v31, v19
	v_add_f16_e32 v31, v55, v36
	v_fmamk_f16 v36, v54, 0xb5ac, v57
	v_add_f16_e32 v7, v41, v7
	v_mul_f16_sdwa v41, v23, v58 dst_sel:DWORD dst_unused:UNUSED_PAD src0_sel:WORD_1 src1_sel:DWORD
	v_pk_add_f16 v50, v59, v50
	v_mov_b32_e32 v59, 0x3770
	v_fma_f16 v57, v54, 0xb5ac, -v57
	v_add_f16_e32 v36, v36, v46
	v_mul_f16_e32 v46, 0x3770, v23
	v_fma_f16 v58, v47, 0xb5ac, -v41
	v_mul_f16_sdwa v55, v23, v59 dst_sel:DWORD dst_unused:UNUSED_PAD src0_sel:WORD_1 src1_sel:DWORD
	v_fmac_f16_e32 v41, 0xb5ac, v47
	v_add_f16_e32 v37, v57, v37
	v_fmamk_f16 v57, v54, 0x3b15, v46
	v_fma_f16 v46, v54, 0x3b15, -v46
	v_add_f16_e32 v42, v58, v42
	v_fma_f16 v58, v47, 0x3b15, -v55
	v_add_f16_e32 v22, v41, v22
	v_mul_f16_sdwa v41, v23, v34 dst_sel:DWORD dst_unused:UNUSED_PAD src0_sel:WORD_1 src1_sel:DWORD
	v_fmac_f16_e32 v55, 0x3b15, v47
	v_add_f16_e32 v49, v57, v49
	v_mul_f16_e32 v57, 0xba95, v23
	v_add_f16_e32 v39, v46, v39
	v_pk_add_f16 v46, v30, v24
	v_add_f16_e32 v48, v58, v48
	v_fma_f16 v58, v47, 0x388b, -v41
	v_add_f16_e32 v21, v55, v21
	v_fmamk_f16 v55, v54, 0x388b, v57
	v_pk_add_f16 v24, v24, v30 neg_lo:[0,1] neg_hi:[0,1]
	v_fmac_f16_e32 v41, 0x388b, v47
	v_fma_f16 v30, v54, 0x388b, -v57
	v_pk_mul_f16 v54, 0xb5acb9fd, v46
	v_add_f16_e32 v51, v55, v51
	v_mul_f16_sdwa v55, v24, v18 dst_sel:DWORD dst_unused:UNUSED_PAD src0_sel:WORD_1 src1_sel:DWORD
	v_add_f16_e32 v38, v41, v38
	v_add_f16_e32 v20, v30, v20
	v_pk_fma_f16 v30, 0x394ebb7b, v24, v54 op_sel:[0,0,1] op_sel_hi:[1,1,0] neg_lo:[0,1,0] neg_hi:[0,1,0]
	v_pk_fma_f16 v41, 0x394ebb7b, v24, v54 op_sel:[0,0,1] op_sel_hi:[1,1,0]
	v_add_f16_e32 v45, v60, v45
	v_add_f16_e32 v40, v58, v40
	v_fma_f16 v54, v46, 0xb5ac, -v55
	v_fmac_f16_e32 v55, 0xb5ac, v46
	v_lshrrev_b32_e32 v57, 16, v46
	v_mul_f16_e32 v58, 0x394e, v24
	v_bfi_b32 v60, 0xffff, v41, v30
	v_add_f16_e32 v43, v54, v43
	v_add_f16_e32 v7, v55, v7
	v_mul_f16_sdwa v54, v24, v59 dst_sel:DWORD dst_unused:UNUSED_PAD src0_sel:WORD_1 src1_sel:DWORD
	v_fmamk_f16 v55, v57, 0xb9fd, v58
	v_pk_add_f16 v50, v60, v50
	v_fma_f16 v58, v57, 0xb9fd, -v58
	v_mul_f16_e32 v60, 0x3770, v24
	v_pk_add_f16 v41, v41, v19
	v_fma_f16 v61, v46, 0x3b15, -v54
	v_add_f16_e32 v45, v55, v45
	v_add_f16_e32 v19, v58, v31
	v_fmamk_f16 v31, v57, 0x3b15, v60
	v_mul_f16_sdwa v32, v24, v32 dst_sel:DWORD dst_unused:UNUSED_PAD src0_sel:WORD_1 src1_sel:DWORD
	v_fmac_f16_e32 v54, 0x3b15, v46
	v_fma_f16 v55, v57, 0x3b15, -v60
	v_add_f16_e32 v42, v61, v42
	v_add_f16_e32 v31, v31, v36
	v_mul_f16_e32 v36, 0xbbf1, v24
	v_fma_f16 v58, v46, 0x2fb7, -v32
	v_add_f16_e32 v22, v54, v22
	v_add_f16_e32 v37, v55, v37
	v_mov_b32_e32 v54, 0x33a8
	v_fmamk_f16 v55, v57, 0x2fb7, v36
	v_add_f16_e32 v48, v58, v48
	v_fmac_f16_e32 v32, 0x2fb7, v46
	v_fma_f16 v36, v57, 0x2fb7, -v36
	v_mul_f16_sdwa v58, v24, v54 dst_sel:DWORD dst_unused:UNUSED_PAD src0_sel:WORD_1 src1_sel:DWORD
	v_add_f16_e32 v49, v55, v49
	v_mul_f16_e32 v55, 0x33a8, v24
	v_add_f16_e32 v21, v32, v21
	v_add_f16_e32 v32, v36, v39
	v_fma_f16 v36, v46, 0xbbc4, -v58
	v_pk_add_f16 v39, v26, v29 neg_lo:[0,1] neg_hi:[0,1]
	v_fmamk_f16 v60, v57, 0xbbc4, v55
	v_pk_add_f16 v26, v29, v26
	v_fmac_f16_e32 v58, 0xbbc4, v46
	v_add_f16_e32 v29, v36, v40
	v_mul_f16_sdwa v36, v39, v33 dst_sel:DWORD dst_unused:UNUSED_PAD src0_sel:WORD_1 src1_sel:DWORD
	v_add_f16_e32 v40, v60, v51
	v_pk_mul_f16 v51, 0xb9fd2fb7, v26
	v_add_f16_e32 v38, v58, v38
	v_fma_f16 v55, v57, 0xbbc4, -v55
	v_fma_f16 v57, v26, 0xb9fd, -v36
	v_fmac_f16_e32 v36, 0xb9fd, v26
	v_pk_fma_f16 v58, 0x3bf1b94e, v39, v51 op_sel:[0,0,1] op_sel_hi:[1,1,0] neg_lo:[0,1,0] neg_hi:[0,1,0]
	v_pk_fma_f16 v51, 0x3bf1b94e, v39, v51 op_sel:[0,0,1] op_sel_hi:[1,1,0]
	v_mul_f16_sdwa v34, v39, v34 dst_sel:DWORD dst_unused:UNUSED_PAD src0_sel:WORD_1 src1_sel:DWORD
	v_lshrrev_b32_e32 v60, 16, v26
	v_add_f16_e32 v7, v36, v7
	v_mul_f16_e32 v61, 0x3bf1, v39
	v_bfi_b32 v36, 0xffff, v51, v58
	v_add_f16_e32 v20, v55, v20
	v_add_f16_e32 v43, v57, v43
	v_mul_f16_e32 v57, 0xba95, v39
	v_fmamk_f16 v55, v60, 0x2fb7, v61
	v_pk_add_f16 v36, v36, v50
	v_fma_f16 v50, v26, 0x388b, -v34
	v_fma_f16 v61, v60, 0x2fb7, -v61
	v_fmac_f16_e32 v34, 0x388b, v26
	v_add_f16_e32 v45, v55, v45
	v_fmamk_f16 v55, v60, 0x388b, v57
	v_add_f16_e32 v42, v50, v42
	v_mul_f16_e32 v50, 0x33a8, v39
	v_add_f16_e32 v61, v61, v19
	v_mul_f16_sdwa v19, v39, v54 dst_sel:DWORD dst_unused:UNUSED_PAD src0_sel:WORD_1 src1_sel:DWORD
	v_add_f16_e32 v22, v34, v22
	v_fma_f16 v34, v60, 0x388b, -v57
	v_fmamk_f16 v57, v60, 0xbbc4, v50
	v_fma_f16 v50, v60, 0xbbc4, -v50
	v_fma_f16 v54, v26, 0xbbc4, -v19
	v_fmac_f16_e32 v19, 0xbbc4, v26
	v_add_f16_e32 v31, v55, v31
	v_add_f16_e32 v49, v57, v49
	v_mul_f16_e32 v57, 0x3770, v39
	v_mul_f16_sdwa v55, v39, v59 dst_sel:DWORD dst_unused:UNUSED_PAD src0_sel:WORD_1 src1_sel:DWORD
	v_add_f16_e32 v21, v19, v21
	v_add_f16_e32 v32, v50, v32
	v_add_f16_sdwa v19, v10, v44 dst_sel:DWORD dst_unused:UNUSED_PAD src0_sel:WORD_1 src1_sel:DWORD
	v_fmamk_f16 v44, v60, 0x3b15, v57
	v_pk_add_f16 v50, v27, v28 neg_lo:[0,1] neg_hi:[0,1]
	v_add_f16_e32 v48, v54, v48
	v_fma_f16 v54, v26, 0x3b15, -v55
	v_fmac_f16_e32 v55, 0x3b15, v26
	v_pk_add_f16 v27, v28, v27
	v_add_f16_e32 v28, v44, v40
	v_mul_f16_sdwa v40, v50, v56 dst_sel:DWORD dst_unused:UNUSED_PAD src0_sel:WORD_1 src1_sel:DWORD
	v_mul_f16_sdwa v33, v50, v33 dst_sel:DWORD dst_unused:UNUSED_PAD src0_sel:WORD_1 src1_sel:DWORD
	v_add_f16_e32 v19, v53, v19
	v_add_f16_e32 v38, v55, v38
	v_pk_mul_f16 v44, 0xbbc43b15, v27
	v_fma_f16 v53, v27, 0xbbc4, -v40
	v_fmac_f16_e32 v40, 0xbbc4, v27
	v_fma_f16 v55, v27, 0xb9fd, -v33
	v_fmac_f16_e32 v33, 0xb9fd, v27
	v_add_f16_e32 v19, v52, v19
	v_mul_f16_sdwa v18, v50, v18 dst_sel:DWORD dst_unused:UNUSED_PAD src0_sel:WORD_1 src1_sel:DWORD
	v_add_f16_e32 v7, v40, v7
	v_lshrrev_b32_e32 v40, 16, v27
	v_add_f16_e32 v42, v55, v42
	v_mul_f16_e32 v55, 0x3a95, v50
	v_add_f16_e32 v22, v33, v22
	v_pk_mul_f16 v35, 0xbbc4, v35 op_sel_hi:[0,1]
	v_add_f16_e32 v29, v54, v29
	v_fma_f16 v52, v60, 0x3b15, -v57
	v_fmamk_f16 v33, v40, 0x388b, v55
	v_pk_fma_f16 v54, 0x3770b3a8, v50, v44 op_sel:[0,0,1] op_sel_hi:[1,1,0] neg_lo:[0,1,0] neg_hi:[0,1,0]
	v_add_f16_e32 v19, v30, v19
	v_pk_fma_f16 v30, 0x3770b3a8, v50, v44 op_sel:[0,0,1] op_sel_hi:[1,1,0]
	v_pk_mul_f16 v17, 0x3b15, v17 op_sel_hi:[0,1]
	v_add_f16_e32 v33, v33, v49
	v_fma_f16 v49, v40, 0x388b, -v55
	v_fma_f16 v55, v27, 0xb5ac, -v18
	v_fmac_f16_e32 v18, 0xb5ac, v27
	v_add_f16_e32 v20, v52, v20
	v_add_f16_e32 v19, v58, v19
	;; [unrolled: 1-line block ×3, first 2 shown]
	v_pk_fma_f16 v49, 0xb3a8, v15, v35 op_sel:[0,0,1] op_sel_hi:[0,1,0] neg_lo:[0,1,0] neg_hi:[0,1,0]
	v_pk_fma_f16 v15, 0xb3a8, v15, v35 op_sel:[0,0,1] op_sel_hi:[0,1,0]
	v_bfi_b32 v30, 0xffff, v30, v54
	v_mul_f16_e32 v52, 0x3770, v50
	v_add_f16_e32 v18, v18, v38
	v_pk_add_f16 v38, v10, v49 op_sel:[1,0] op_sel_hi:[0,1]
	v_pk_add_f16 v10, v10, v15 op_sel:[1,0] op_sel_hi:[0,1]
	v_pk_fma_f16 v15, 0x3770, v14, v17 op_sel:[0,0,1] op_sel_hi:[0,1,0] neg_lo:[0,1,0] neg_hi:[0,1,0]
	v_pk_fma_f16 v14, 0x3770, v14, v17 op_sel:[0,0,1] op_sel_hi:[0,1,0]
	v_pk_mul_f16 v17, 0xb9fd, v47 op_sel_hi:[0,1]
	v_add_f16_e32 v19, v54, v19
	v_pk_add_f16 v30, v30, v36
	v_fmamk_f16 v36, v40, 0x3b15, v52
	v_fma_f16 v52, v40, 0x3b15, -v52
	v_mov_b32_e32 v54, 0x3a95
	v_pk_add_f16 v15, v15, v38
	v_pk_add_f16 v10, v14, v10
	v_pk_fma_f16 v14, 0xb94e, v23, v17 op_sel:[0,0,1] op_sel_hi:[0,1,0] neg_lo:[0,1,0] neg_hi:[0,1,0]
	v_pk_fma_f16 v17, 0xb94e, v23, v17 op_sel:[0,0,1] op_sel_hi:[0,1,0]
	v_pk_mul_f16 v23, 0x388b, v46 op_sel_hi:[0,1]
	v_add_f16_e32 v36, v36, v45
	v_add_f16_e32 v45, v52, v61
	v_mul_f16_sdwa v52, v50, v54 dst_sel:DWORD dst_unused:UNUSED_PAD src0_sel:WORD_1 src1_sel:DWORD
	v_pk_add_f16 v14, v14, v15
	v_pk_add_f16 v10, v17, v10
	v_pk_fma_f16 v15, 0x3a95, v24, v23 op_sel:[0,0,1] op_sel_hi:[0,1,0] neg_lo:[0,1,0] neg_hi:[0,1,0]
	v_pk_mul_f16 v17, 0xb5ac, v26 op_sel_hi:[0,1]
	v_mul_f16_e32 v56, 0xb9fd, v40
	v_fma_f16 v57, v27, 0x388b, -v52
	v_mul_f16_e32 v58, 0xb94e, v50
	v_pk_fma_f16 v23, 0x3a95, v24, v23 op_sel:[0,0,1] op_sel_hi:[0,1,0]
	v_pk_add_f16 v14, v15, v14
	v_pk_fma_f16 v15, 0xbb7b, v39, v17 op_sel:[0,0,1] op_sel_hi:[0,1,0] neg_lo:[0,1,0] neg_hi:[0,1,0]
	v_fmamk_f16 v54, v50, 0xb94e, v56
	v_add_f16_e32 v43, v53, v43
	v_pk_mul_f16 v53, 0x3770b3a8, v50
	v_add_f16_e32 v48, v57, v48
	v_pk_add_f16 v10, v23, v10
	v_pk_fma_f16 v17, 0xbb7b, v39, v17 op_sel:[0,0,1] op_sel_hi:[0,1,0]
	v_pk_mul_f16 v23, 0x2fb7, v27 op_sel_hi:[0,1]
	v_pk_add_f16 v14, v15, v14
	v_bfi_b32 v15, 0xffff, v58, v41
	v_add_f16_e32 v31, v54, v31
	v_fmac_f16_e32 v52, 0x388b, v27
	v_mul_f16_e32 v54, 0xbb7b, v50
	v_alignbit_b32 v24, v36, v30, 16
	v_pack_b32_f16 v26, v43, v30
	v_pack_b32_f16 v27, v48, v33
	v_pk_add_f16 v10, v17, v10
	v_pk_fma_f16 v17, 0x3bf1, v50, v23 op_sel:[0,0,1] op_sel_hi:[0,1,0] neg_lo:[0,1,0] neg_hi:[0,1,0]
	v_pack_b32_f16 v30, v34, v44
	v_bfi_b32 v33, 0xffff, v37, v53
	v_pk_add_f16 v15, v56, v15 neg_lo:[0,1] neg_hi:[0,1]
	v_pk_add_f16 v34, v51, v41
	v_add_f16_e32 v21, v52, v21
	v_fmamk_f16 v52, v40, 0xb5ac, v54
	v_pk_fma_f16 v23, 0x3bf1, v50, v23 op_sel:[0,0,1] op_sel_hi:[0,1,0]
	v_fma_f16 v35, v40, 0xb5ac, -v54
	v_pk_add_f16 v14, v17, v14
	v_pk_add_f16 v17, v30, v33
	v_bfi_b32 v15, 0xffff, v15, v34
	v_add_f16_e32 v29, v55, v29
	v_add_f16_e32 v28, v52, v28
	v_pk_add_f16 v10, v23, v10
	v_add_f16_e32 v20, v35, v20
	v_pk_add_f16 v15, v15, v17
	v_pack_b32_f16 v31, v42, v31
	v_pack_b32_f16 v23, v29, v28
	v_alignbit_b32 v17, v14, v10, 16
	v_alignbit_b32 v10, v10, v14, 16
	v_pack_b32_f16 v14, v21, v32
	v_pack_b32_f16 v18, v18, v20
	v_alignbit_b32 v20, v45, v15, 16
	v_pack_b32_f16 v15, v22, v15
	v_pack_b32_f16 v21, v7, v19
	ds_write2_b32 v11, v26, v24 offset0:1 offset1:2
	ds_write2_b32 v11, v31, v27 offset0:3 offset1:4
	ds_write2_b32 v11, v12, v23 offset1:5
	ds_write2_b32 v11, v10, v17 offset0:6 offset1:7
	ds_write2_b32 v11, v18, v14 offset0:8 offset1:9
	;; [unrolled: 1-line block ×3, first 2 shown]
	ds_write_b32 v11, v21 offset:48
	s_waitcnt lgkmcnt(0)
	s_barrier
	buffer_gl0_inv
	ds_read2_b32 v[14:15], v4 offset0:160 offset1:208
	ds_read2_b32 v[21:22], v4 offset0:32 offset1:64
	;; [unrolled: 1-line block ×5, first 2 shown]
	ds_read_b32 v17, v25
	ds_read_b32 v18, v4 offset:1472
                                        ; implicit-def: $vgpr20
	s_and_saveexec_b32 s1, s0
	s_cbranch_execz .LBB0_23
; %bb.22:
	v_add_nc_u32_e32 v7, 0x300, v4
	ds_read2_b32 v[7:8], v7 offset1:208
	s_waitcnt lgkmcnt(0)
	v_lshrrev_b32_e32 v19, 16, v7
	v_lshrrev_b32_e32 v20, 16, v8
.LBB0_23:
	s_or_b32 exec_lo, exec_lo, s1
	v_or_b32_e32 v27, 32, v3
	v_or_b32_e32 v28, 64, v3
	v_and_b32_e32 v30, 0xff, v13
	v_and_b32_e32 v26, 0xff, v3
	v_or_b32_e32 v32, 0x80, v3
	v_and_b32_e32 v29, 0xff, v27
	v_and_b32_e32 v34, 0xff, v28
	v_or_b32_e32 v33, 0xa0, v3
	v_or_b32_e32 v31, 0x60, v3
	v_mul_lo_u16 v30, 0x4f, v30
	v_mul_lo_u16 v29, 0x4f, v29
	;; [unrolled: 1-line block ×3, first 2 shown]
	v_and_b32_e32 v35, 0xff, v32
	v_mul_lo_u16 v34, 0x4f, v34
	v_and_b32_e32 v38, 0xff, v33
	v_lshrrev_b16 v37, 10, v29
	v_lshrrev_b16 v29, 10, v30
	v_and_b32_e32 v30, 0xff, v31
	v_lshrrev_b16 v26, 10, v26
	v_lshrrev_b16 v34, 10, v34
	v_mul_lo_u16 v35, 0x4f, v35
	v_mul_lo_u16 v38, 0x4f, v38
	v_mul_lo_u16 v40, v29, 13
	v_mul_lo_u16 v30, 0x4f, v30
	v_mul_lo_u16 v36, v26, 13
	v_mul_lo_u16 v41, v34, 13
	v_lshrrev_b16 v35, 10, v35
	v_lshrrev_b16 v38, 10, v38
	v_sub_nc_u16 v13, v13, v40
	v_mov_b32_e32 v40, 2
	v_lshrrev_b16 v42, 10, v30
	v_sub_nc_u16 v36, v3, v36
	v_sub_nc_u16 v28, v28, v41
	v_mul_lo_u16 v41, v35, 13
	v_mul_lo_u16 v43, v38, 13
	v_lshlrev_b32_sdwa v30, v40, v13 dst_sel:DWORD dst_unused:UNUSED_PAD src0_sel:DWORD src1_sel:BYTE_0
	v_mul_lo_u16 v13, v42, 13
	v_mul_lo_u16 v39, v37, 13
	v_lshlrev_b32_sdwa v36, v40, v36 dst_sel:DWORD dst_unused:UNUSED_PAD src0_sel:DWORD src1_sel:BYTE_0
	v_sub_nc_u16 v32, v32, v41
	v_sub_nc_u16 v33, v33, v43
	;; [unrolled: 1-line block ×4, first 2 shown]
	s_clause 0x1
	global_load_dword v41, v30, s[12:13]
	global_load_dword v31, v36, s[12:13]
	v_lshlrev_b32_sdwa v32, v40, v32 dst_sel:DWORD dst_unused:UNUSED_PAD src0_sel:DWORD src1_sel:BYTE_0
	v_lshlrev_b32_sdwa v33, v40, v33 dst_sel:DWORD dst_unused:UNUSED_PAD src0_sel:DWORD src1_sel:BYTE_0
	;; [unrolled: 1-line block ×5, first 2 shown]
	s_clause 0x4
	global_load_dword v39, v32, s[12:13]
	global_load_dword v40, v33, s[12:13]
	;; [unrolled: 1-line block ×5, first 2 shown]
	v_and_b32_e32 v26, 0xffff, v26
	v_and_b32_e32 v37, 0xffff, v37
	;; [unrolled: 1-line block ×5, first 2 shown]
	v_mad_u32_u24 v26, 0x68, v26, 0
	v_mad_u32_u24 v37, 0x68, v37, 0
	;; [unrolled: 1-line block ×3, first 2 shown]
	v_and_b32_e32 v34, 0xffff, v34
	v_mad_u32_u24 v35, 0x68, v35, 0
	v_mad_u32_u24 v38, 0x68, v38, 0
	v_add3_u32 v36, v26, v36, v16
	v_add3_u32 v37, v37, v27, v16
	;; [unrolled: 1-line block ×3, first 2 shown]
	v_mad_u32_u24 v34, 0x68, v34, 0
	v_add3_u32 v32, v35, v32, v16
	v_add3_u32 v33, v38, v33, v16
	s_waitcnt vmcnt(0) lgkmcnt(0)
	s_barrier
	v_add3_u32 v34, v34, v28, v16
	buffer_gl0_inv
	v_mul_f16_sdwa v13, v20, v41 dst_sel:DWORD dst_unused:UNUSED_PAD src0_sel:DWORD src1_sel:WORD_1
	v_mul_f16_sdwa v26, v8, v41 dst_sel:DWORD dst_unused:UNUSED_PAD src0_sel:DWORD src1_sel:WORD_1
	v_pk_mul_f16 v27, v31, v15 op_sel:[0,1]
	v_fma_f16 v8, v8, v41, -v13
	v_fmac_f16_e32 v26, v20, v41
	v_pk_fma_f16 v13, v31, v15, v27 op_sel:[0,0,1] op_sel_hi:[1,0,0]
	v_pk_fma_f16 v15, v31, v15, v27 op_sel:[0,0,1] op_sel_hi:[1,0,0] neg_lo:[0,0,1] neg_hi:[0,0,1]
	v_pk_mul_f16 v20, v39, v12 op_sel:[0,1]
	v_pk_mul_f16 v27, v40, v18 op_sel:[0,1]
	v_pk_mul_f16 v31, v43, v11 op_sel:[0,1]
	v_pk_mul_f16 v35, v44, v10 op_sel:[0,1]
	v_pk_mul_f16 v38, v45, v9 op_sel:[0,1]
	v_bfi_b32 v13, 0xffff, v15, v13
	v_pk_fma_f16 v41, v39, v12, v20 op_sel:[0,0,1] op_sel_hi:[1,0,0]
	v_pk_fma_f16 v12, v39, v12, v20 op_sel:[0,0,1] op_sel_hi:[1,0,0] neg_lo:[0,0,1] neg_hi:[0,0,1]
	v_pk_fma_f16 v20, v40, v18, v27 op_sel:[0,0,1] op_sel_hi:[1,0,0]
	v_pk_fma_f16 v18, v40, v18, v27 op_sel:[0,0,1] op_sel_hi:[1,0,0] neg_lo:[0,0,1] neg_hi:[0,0,1]
	v_sub_f16_e32 v15, v7, v8
	v_sub_f16_e32 v28, v19, v26
	v_pk_fma_f16 v26, v43, v11, v31 op_sel:[0,0,1] op_sel_hi:[1,1,0] neg_lo:[0,0,1] neg_hi:[0,0,1]
	v_pk_fma_f16 v31, v43, v11, v31 op_sel:[0,0,1] op_sel_hi:[1,0,0]
	v_pk_fma_f16 v39, v44, v10, v35 op_sel:[0,0,1] op_sel_hi:[1,1,0] neg_lo:[0,0,1] neg_hi:[0,0,1]
	v_pk_fma_f16 v10, v44, v10, v35 op_sel:[0,0,1] op_sel_hi:[1,0,0]
	;; [unrolled: 2-line block ×3, first 2 shown]
	v_pk_add_f16 v11, v17, v13 neg_lo:[0,1] neg_hi:[0,1]
	v_bfi_b32 v12, 0xffff, v12, v41
	v_bfi_b32 v18, 0xffff, v18, v20
	v_fma_f16 v8, v7, 2.0, -v15
	v_fma_f16 v27, v19, 2.0, -v28
	v_bfi_b32 v7, 0xffff, v35, v9
	v_bfi_b32 v10, 0xffff, v39, v10
	;; [unrolled: 1-line block ×3, first 2 shown]
	v_pk_fma_f16 v26, v17, 2.0, v11 op_sel_hi:[1,0,1] neg_lo:[0,0,1] neg_hi:[0,0,1]
	v_pk_add_f16 v13, v24, v12 neg_lo:[0,1] neg_hi:[0,1]
	v_pk_add_f16 v9, v21, v7 neg_lo:[0,1] neg_hi:[0,1]
	;; [unrolled: 1-line block ×5, first 2 shown]
	v_pk_fma_f16 v20, v24, 2.0, v13 op_sel_hi:[1,0,1] neg_lo:[0,0,1] neg_hi:[0,0,1]
	v_pk_fma_f16 v12, v21, 2.0, v9 op_sel_hi:[1,0,1] neg_lo:[0,0,1] neg_hi:[0,0,1]
	;; [unrolled: 1-line block ×5, first 2 shown]
	ds_write2_b32 v36, v26, v11 offset1:13
	ds_write2_b32 v37, v12, v9 offset1:13
	;; [unrolled: 1-line block ×6, first 2 shown]
	s_and_saveexec_b32 s1, s0
	s_cbranch_execz .LBB0_25
; %bb.24:
	v_and_b32_e32 v21, 0xffff, v29
	v_perm_b32 v22, v27, v8, 0x5040100
	v_mad_u32_u24 v21, 0x68, v21, 0
	v_add3_u32 v16, v21, v30, v16
	v_perm_b32 v21, v28, v15, 0x5040100
	ds_write2_b32 v16, v22, v21 offset1:13
.LBB0_25:
	s_or_b32 exec_lo, exec_lo, s1
	v_cmp_gt_u32_e64 s0, 26, v3
	v_lshrrev_b32_e32 v21, 16, v11
	v_lshrrev_b32_e32 v32, 16, v18
	;; [unrolled: 1-line block ×7, first 2 shown]
	s_waitcnt lgkmcnt(0)
	s_barrier
	buffer_gl0_inv
                                        ; implicit-def: $vgpr31
                                        ; implicit-def: $vgpr30
                                        ; implicit-def: $vgpr29
	s_and_saveexec_b32 s1, s0
	s_cbranch_execz .LBB0_27
; %bb.26:
	v_add_nc_u32_e32 v13, 0x400, v4
	ds_read_b32 v29, v4 offset:1560
	ds_read2_b32 v[11:12], v4 offset0:26 offset1:52
	ds_read2_b32 v[9:10], v4 offset0:78 offset1:104
	ds_read2_b32 v[17:18], v4 offset0:130 offset1:156
	ds_read2_b32 v[7:8], v13 offset0:30 offset1:56
	ds_read2_b32 v[15:16], v13 offset0:82 offset1:108
	ds_read2_b32 v[19:20], v4 offset0:182 offset1:208
	v_add_nc_u32_e32 v13, 0x200, v4
	ds_read_b32 v26, v25
	ds_read2_b32 v[13:14], v13 offset0:106 offset1:132
	s_waitcnt lgkmcnt(6)
	v_lshrrev_b32_e32 v24, 16, v9
	v_lshrrev_b32_e32 v30, 16, v29
	;; [unrolled: 1-line block ×5, first 2 shown]
	s_waitcnt lgkmcnt(5)
	v_lshrrev_b32_e32 v33, 16, v17
	v_lshrrev_b32_e32 v32, 16, v18
	s_waitcnt lgkmcnt(4)
	v_lshrrev_b32_e32 v27, 16, v8
	s_waitcnt lgkmcnt(3)
	v_lshrrev_b32_e32 v28, 16, v15
	v_lshrrev_b32_e32 v31, 16, v16
	s_waitcnt lgkmcnt(2)
	v_lshrrev_b32_e32 v34, 16, v19
.LBB0_27:
	s_or_b32 exec_lo, exec_lo, s1
	s_waitcnt lgkmcnt(0)
	s_barrier
	buffer_gl0_inv
	s_and_saveexec_b32 s1, s0
	s_cbranch_execz .LBB0_29
; %bb.28:
	v_subrev_nc_u32_e32 v35, 26, v3
	v_mov_b32_e32 v36, 0
	v_lshrrev_b32_e32 v50, 16, v20
	v_lshrrev_b32_e32 v51, 16, v14
	;; [unrolled: 1-line block ×3, first 2 shown]
	v_cndmask_b32_e64 v35, v35, v3, s0
	v_lshrrev_b32_e32 v53, 16, v7
	v_lshrrev_b32_e32 v54, 16, v26
	v_add_nc_u32_e32 v56, 0x400, v4
	v_add_nc_u32_e32 v55, 0x200, v4
	v_mul_i32_i24_e32 v35, 15, v35
	v_lshlrev_b64 v[35:36], 2, v[35:36]
	v_add_co_u32 v43, s0, s12, v35
	v_add_co_ci_u32_e64 v44, s0, s13, v36, s0
	s_clause 0x3
	global_load_dwordx4 v[35:38], v[43:44], off offset:68
	global_load_dwordx3 v[47:49], v[43:44], off offset:100
	global_load_dwordx4 v[39:42], v[43:44], off offset:52
	global_load_dwordx4 v[43:46], v[43:44], off offset:84
	s_waitcnt vmcnt(3)
	v_mul_f16_sdwa v57, v32, v36 dst_sel:DWORD dst_unused:UNUSED_PAD src0_sel:DWORD src1_sel:WORD_1
	v_mul_f16_sdwa v58, v33, v35 dst_sel:DWORD dst_unused:UNUSED_PAD src0_sel:DWORD src1_sel:WORD_1
	;; [unrolled: 1-line block ×7, first 2 shown]
	v_fma_f16 v18, v18, v36, -v57
	v_mul_f16_sdwa v57, v20, v38 dst_sel:DWORD dst_unused:UNUSED_PAD src0_sel:DWORD src1_sel:WORD_1
	v_fma_f16 v17, v17, v35, -v58
	s_waitcnt vmcnt(2)
	v_mul_f16_sdwa v58, v31, v48 dst_sel:DWORD dst_unused:UNUSED_PAD src0_sel:DWORD src1_sel:WORD_1
	v_fma_f16 v20, v20, v38, -v59
	v_fma_f16 v19, v19, v37, -v61
	v_mul_f16_sdwa v59, v28, v47 dst_sel:DWORD dst_unused:UNUSED_PAD src0_sel:DWORD src1_sel:WORD_1
	v_mul_f16_sdwa v61, v29, v49 dst_sel:DWORD dst_unused:UNUSED_PAD src0_sel:DWORD src1_sel:WORD_1
	v_fmac_f16_e32 v60, v32, v36
	v_mul_f16_sdwa v32, v16, v48 dst_sel:DWORD dst_unused:UNUSED_PAD src0_sel:DWORD src1_sel:WORD_1
	v_fmac_f16_e32 v62, v33, v35
	;; [unrolled: 2-line block ×4, first 2 shown]
	s_waitcnt vmcnt(1)
	v_mul_f16_sdwa v35, v23, v40 dst_sel:DWORD dst_unused:UNUSED_PAD src0_sel:DWORD src1_sel:WORD_1
	v_mul_f16_sdwa v38, v21, v39 dst_sel:DWORD dst_unused:UNUSED_PAD src0_sel:DWORD src1_sel:WORD_1
	s_waitcnt vmcnt(0)
	v_mul_f16_sdwa v36, v51, v44 dst_sel:DWORD dst_unused:UNUSED_PAD src0_sel:DWORD src1_sel:WORD_1
	v_mul_f16_sdwa v37, v12, v40 dst_sel:DWORD dst_unused:UNUSED_PAD src0_sel:DWORD src1_sel:WORD_1
	;; [unrolled: 1-line block ×3, first 2 shown]
	v_fma_f16 v16, v16, v48, -v58
	v_fma_f16 v15, v15, v47, -v59
	v_mul_f16_sdwa v58, v52, v43 dst_sel:DWORD dst_unused:UNUSED_PAD src0_sel:DWORD src1_sel:WORD_1
	v_mul_f16_sdwa v59, v11, v39 dst_sel:DWORD dst_unused:UNUSED_PAD src0_sel:DWORD src1_sel:WORD_1
	v_fmac_f16_e32 v61, v30, v49
	v_mul_f16_sdwa v30, v13, v43 dst_sel:DWORD dst_unused:UNUSED_PAD src0_sel:DWORD src1_sel:WORD_1
	v_fmac_f16_e32 v32, v31, v48
	v_mul_f16_sdwa v31, v10, v42 dst_sel:DWORD dst_unused:UNUSED_PAD src0_sel:DWORD src1_sel:WORD_1
	v_fma_f16 v29, v29, v49, -v34
	v_mul_f16_sdwa v34, v8, v46 dst_sel:DWORD dst_unused:UNUSED_PAD src0_sel:DWORD src1_sel:WORD_1
	v_fmac_f16_e32 v33, v28, v47
	v_mul_f16_sdwa v28, v9, v41 dst_sel:DWORD dst_unused:UNUSED_PAD src0_sel:DWORD src1_sel:WORD_1
	v_mul_f16_sdwa v47, v7, v45 dst_sel:DWORD dst_unused:UNUSED_PAD src0_sel:DWORD src1_sel:WORD_1
	;; [unrolled: 1-line block ×4, first 2 shown]
	v_fma_f16 v12, v12, v40, -v35
	v_fma_f16 v11, v11, v39, -v38
	v_mul_f16_sdwa v35, v22, v42 dst_sel:DWORD dst_unused:UNUSED_PAD src0_sel:DWORD src1_sel:WORD_1
	v_mul_f16_sdwa v38, v27, v46 dst_sel:DWORD dst_unused:UNUSED_PAD src0_sel:DWORD src1_sel:WORD_1
	v_fma_f16 v14, v14, v44, -v36
	v_fma_f16 v13, v13, v43, -v58
	v_fmac_f16_e32 v37, v23, v40
	v_fmac_f16_e32 v50, v51, v44
	;; [unrolled: 1-line block ×8, first 2 shown]
	v_fma_f16 v9, v9, v41, -v48
	v_fma_f16 v7, v7, v45, -v49
	;; [unrolled: 1-line block ×4, first 2 shown]
	v_sub_f16_e32 v20, v26, v20
	v_sub_f16_e32 v21, v31, v34
	v_sub_f16_e32 v14, v12, v14
	v_sub_f16_e32 v22, v60, v32
	v_sub_f16_e32 v23, v37, v50
	v_sub_f16_e32 v16, v18, v16
	v_sub_f16_e32 v13, v11, v13
	v_sub_f16_e32 v24, v62, v33
	v_sub_f16_e32 v7, v9, v7
	v_sub_f16_e32 v27, v63, v61
	v_sub_f16_e32 v32, v28, v47
	v_sub_f16_e32 v29, v19, v29
	v_sub_f16_e32 v30, v59, v30
	v_sub_f16_e32 v15, v17, v15
	v_sub_f16_e32 v33, v54, v57
	v_sub_f16_e32 v8, v10, v8
	v_sub_f16_e32 v34, v20, v21
	v_sub_f16_e32 v35, v14, v22
	v_add_f16_e32 v36, v23, v16
	v_sub_f16_e32 v38, v13, v24
	v_sub_f16_e32 v39, v7, v27
	v_add_f16_e32 v40, v32, v29
	v_add_f16_e32 v41, v30, v15
	;; [unrolled: 1-line block ×3, first 2 shown]
	v_fma_f16 v15, v17, 2.0, -v15
	v_fma_f16 v17, v28, 2.0, -v32
	;; [unrolled: 1-line block ×16, first 2 shown]
	v_fmamk_f16 v18, v35, 0x39a8, v34
	v_fmamk_f16 v31, v39, 0x39a8, v38
	;; [unrolled: 1-line block ×4, first 2 shown]
	v_fma_f16 v20, v20, 2.0, -v34
	v_fma_f16 v14, v14, 2.0, -v35
	v_fma_f16 v23, v23, 2.0, -v36
	v_fma_f16 v13, v13, 2.0, -v38
	v_fma_f16 v7, v7, 2.0, -v39
	v_fma_f16 v32, v32, 2.0, -v40
	v_fma_f16 v30, v30, 2.0, -v41
	v_fma_f16 v33, v33, 2.0, -v42
	v_sub_f16_e32 v24, v28, v24
	v_sub_f16_e32 v19, v9, v19
	;; [unrolled: 1-line block ×8, first 2 shown]
	v_fmac_f16_e32 v18, 0xb9a8, v36
	v_fmac_f16_e32 v31, 0xb9a8, v40
	;; [unrolled: 1-line block ×4, first 2 shown]
	v_fmamk_f16 v35, v14, 0xb9a8, v20
	v_fmamk_f16 v36, v7, 0xb9a8, v13
	;; [unrolled: 1-line block ×4, first 2 shown]
	v_add_f16_e32 v46, v24, v19
	v_add_f16_e32 v47, v21, v16
	v_sub_f16_e32 v44, v8, v22
	v_sub_f16_e32 v45, v15, v27
	v_fma_f16 v26, v26, 2.0, -v8
	v_fma_f16 v12, v12, 2.0, -v16
	;; [unrolled: 1-line block ×10, first 2 shown]
	v_fmac_f16_e32 v35, 0xb9a8, v23
	v_fmac_f16_e32 v36, 0xb9a8, v32
	;; [unrolled: 1-line block ×4, first 2 shown]
	v_fmamk_f16 v7, v31, 0x3b64, v18
	v_fma_f16 v24, v24, 2.0, -v46
	v_fma_f16 v21, v21, 2.0, -v47
	v_fmamk_f16 v23, v45, 0x39a8, v44
	v_sub_f16_e32 v12, v26, v12
	v_sub_f16_e32 v17, v16, v17
	;; [unrolled: 1-line block ×4, first 2 shown]
	v_fma_f16 v19, v34, 2.0, -v18
	v_fma_f16 v22, v38, 2.0, -v31
	v_fmamk_f16 v14, v37, 0x3b64, v43
	v_fma_f16 v8, v8, 2.0, -v44
	v_fma_f16 v15, v15, 2.0, -v45
	v_fmamk_f16 v38, v28, 0xb61f, v29
	v_fmac_f16_e32 v7, 0xb61f, v37
	v_fmamk_f16 v37, v24, 0xb9a8, v21
	v_fma_f16 v20, v20, 2.0, -v35
	v_fma_f16 v13, v13, 2.0, -v36
	;; [unrolled: 1-line block ×4, first 2 shown]
	v_fmamk_f16 v32, v46, 0x39a8, v47
	v_fmac_f16_e32 v23, 0xb9a8, v46
	v_add_f16_e32 v46, v10, v9
	v_fma_f16 v26, v26, 2.0, -v12
	v_fma_f16 v9, v11, 2.0, -v9
	;; [unrolled: 1-line block ×4, first 2 shown]
	v_fmamk_f16 v34, v22, 0xb61f, v19
	v_fmamk_f16 v41, v36, 0x361f, v35
	;; [unrolled: 1-line block ×3, first 2 shown]
	v_fmac_f16_e32 v14, 0x361f, v31
	v_fmamk_f16 v31, v15, 0xb9a8, v8
	v_fmac_f16_e32 v38, 0x3b64, v22
	v_fmac_f16_e32 v37, 0x39a8, v15
	v_fmamk_f16 v15, v13, 0xbb64, v20
	v_fmamk_f16 v22, v30, 0xbb64, v33
	v_sub_f16_e32 v9, v26, v9
	v_sub_f16_e32 v16, v11, v16
	v_fmac_f16_e32 v32, 0x39a8, v45
	v_sub_f16_e32 v45, v12, v17
	v_fmac_f16_e32 v34, 0xbb64, v28
	v_fmac_f16_e32 v41, 0xbb64, v39
	v_fmac_f16_e32 v42, 0x3b64, v36
	v_fma_f16 v17, v18, 2.0, -v7
	v_fma_f16 v18, v43, 2.0, -v14
	v_fmac_f16_e32 v31, 0xb9a8, v24
	v_fmac_f16_e32 v15, 0xb61f, v30
	;; [unrolled: 1-line block ×3, first 2 shown]
	v_fma_f16 v13, v26, 2.0, -v9
	v_fma_f16 v11, v11, 2.0, -v16
	;; [unrolled: 1-line block ×8, first 2 shown]
	v_pack_b32_f16 v23, v23, v32
	v_pack_b32_f16 v7, v7, v14
	v_fma_f16 v14, v35, 2.0, -v41
	v_fma_f16 v32, v40, 2.0, -v42
	v_pack_b32_f16 v17, v17, v18
	v_pack_b32_f16 v9, v9, v16
	v_fma_f16 v8, v8, 2.0, -v31
	v_fma_f16 v21, v21, 2.0, -v37
	;; [unrolled: 1-line block ×4, first 2 shown]
	v_pack_b32_f16 v28, v45, v46
	v_pack_b32_f16 v18, v34, v38
	;; [unrolled: 1-line block ×9, first 2 shown]
	ds_write2_b32 v4, v17, v9 offset0:182 offset1:208
	v_pack_b32_f16 v9, v15, v22
	v_pack_b32_f16 v8, v8, v21
	;; [unrolled: 1-line block ×3, first 2 shown]
	ds_write2_b32 v56, v18, v28 offset0:30 offset1:56
	ds_write2_b32 v56, v24, v23 offset0:82 offset1:108
	ds_write_b32 v25, v11
	ds_write2_b32 v4, v13, v10 offset0:78 offset1:104
	ds_write2_b32 v4, v14, v12 offset0:130 offset1:156
	;; [unrolled: 1-line block ×4, first 2 shown]
	ds_write_b32 v4, v7 offset:1560
.LBB0_29:
	s_or_b32 exec_lo, exec_lo, s1
	s_waitcnt lgkmcnt(0)
	s_barrier
	buffer_gl0_inv
	s_and_saveexec_b32 s0, vcc_lo
	s_cbranch_execz .LBB0_31
; %bb.30:
	v_mul_lo_u32 v7, s3, v5
	v_mul_lo_u32 v8, s2, v6
	v_mad_u64_u32 v[5:6], null, s2, v5, 0
	v_lshl_add_u32 v19, v3, 2, v0
	v_mov_b32_e32 v4, 0
	v_lshlrev_b64 v[0:1], 2, v[1:2]
	v_add_nc_u32_e32 v9, 64, v3
	ds_read2_b32 v[11:12], v19 offset1:32
	v_add3_u32 v6, v6, v8, v7
	v_add_nc_u32_e32 v7, 32, v3
	v_mov_b32_e32 v8, v4
	ds_read2_b32 v[15:16], v19 offset0:64 offset1:96
	v_lshlrev_b64 v[13:14], 2, v[3:4]
	v_lshlrev_b64 v[5:6], 2, v[5:6]
	v_mov_b32_e32 v10, v4
	v_add_co_u32 v2, vcc_lo, s10, v5
	v_add_co_ci_u32_e32 v17, vcc_lo, s11, v6, vcc_lo
	v_lshlrev_b64 v[5:6], 2, v[7:8]
	v_add_co_u32 v20, vcc_lo, v2, v0
	v_add_co_ci_u32_e32 v21, vcc_lo, v17, v1, vcc_lo
	v_lshlrev_b64 v[0:1], 2, v[9:10]
	v_add_co_u32 v7, vcc_lo, v20, v13
	v_add_co_ci_u32_e32 v8, vcc_lo, v21, v14, vcc_lo
	v_add_co_u32 v5, vcc_lo, v20, v5
	v_add_nc_u32_e32 v9, 0x60, v3
	ds_read2_b32 v[17:18], v19 offset0:128 offset1:160
	v_add_co_ci_u32_e32 v6, vcc_lo, v21, v6, vcc_lo
	v_add_co_u32 v0, vcc_lo, v20, v0
	v_add_nc_u32_e32 v13, 0x80, v3
	v_mov_b32_e32 v14, v4
	v_add_co_ci_u32_e32 v1, vcc_lo, v21, v1, vcc_lo
	v_lshlrev_b64 v[9:10], 2, v[9:10]
	s_waitcnt lgkmcnt(2)
	global_store_dword v[7:8], v11, off
	global_store_dword v[5:6], v12, off
	s_waitcnt lgkmcnt(1)
	global_store_dword v[0:1], v15, off
	v_lshlrev_b64 v[0:1], 2, v[13:14]
	v_add_nc_u32_e32 v7, 0xa0, v3
	v_mov_b32_e32 v8, v4
	v_add_nc_u32_e32 v11, 0x100, v3
	v_add_co_u32 v5, vcc_lo, v20, v9
	v_add_co_ci_u32_e32 v6, vcc_lo, v21, v10, vcc_lo
	v_add_co_u32 v0, vcc_lo, v20, v0
	v_add_co_ci_u32_e32 v1, vcc_lo, v21, v1, vcc_lo
	v_add_nc_u32_e32 v9, 0xc0, v3
	v_mov_b32_e32 v10, v4
	global_store_dword v[5:6], v16, off
	s_waitcnt lgkmcnt(0)
	global_store_dword v[0:1], v17, off
	ds_read2_b32 v[5:6], v19 offset0:192 offset1:224
	v_lshlrev_b64 v[0:1], 2, v[7:8]
	v_mov_b32_e32 v12, v4
	v_lshlrev_b64 v[7:8], 2, v[9:10]
	v_add_nc_u32_e32 v9, 0xe0, v3
	v_add_nc_u32_e32 v2, 0x400, v19
	;; [unrolled: 1-line block ×3, first 2 shown]
	v_add_co_u32 v0, vcc_lo, v20, v0
	v_lshlrev_b64 v[9:10], 2, v[9:10]
	v_add_co_ci_u32_e32 v1, vcc_lo, v21, v1, vcc_lo
	v_add_co_u32 v7, vcc_lo, v20, v7
	v_add_co_ci_u32_e32 v8, vcc_lo, v21, v8, vcc_lo
	v_add_co_u32 v9, vcc_lo, v20, v9
	v_add_co_ci_u32_e32 v10, vcc_lo, v21, v10, vcc_lo
	global_store_dword v[0:1], v18, off
	s_waitcnt lgkmcnt(0)
	global_store_dword v[7:8], v5, off
	global_store_dword v[9:10], v6, off
	v_add_nc_u32_e32 v7, 0x120, v3
	v_mov_b32_e32 v8, v4
	v_lshlrev_b64 v[5:6], 2, v[11:12]
	ds_read2_b32 v[0:1], v2 offset1:32
	v_add_nc_u32_e32 v9, 0x140, v3
	v_mov_b32_e32 v10, v4
	v_lshlrev_b64 v[7:8], 2, v[7:8]
	ds_read2_b32 v[11:12], v2 offset0:64 offset1:96
	ds_read_b32 v15, v19 offset:1536
	v_add_co_u32 v5, vcc_lo, v20, v5
	v_lshlrev_b64 v[9:10], 2, v[9:10]
	v_add_nc_u32_e32 v3, 0x180, v3
	v_add_co_ci_u32_e32 v6, vcc_lo, v21, v6, vcc_lo
	v_add_co_u32 v7, vcc_lo, v20, v7
	v_lshlrev_b64 v[13:14], 2, v[13:14]
	v_add_co_ci_u32_e32 v8, vcc_lo, v21, v8, vcc_lo
	v_add_co_u32 v9, vcc_lo, v20, v9
	v_lshlrev_b64 v[2:3], 2, v[3:4]
	v_add_co_ci_u32_e32 v10, vcc_lo, v21, v10, vcc_lo
	v_add_co_u32 v13, vcc_lo, v20, v13
	v_add_co_ci_u32_e32 v14, vcc_lo, v21, v14, vcc_lo
	v_add_co_u32 v2, vcc_lo, v20, v2
	v_add_co_ci_u32_e32 v3, vcc_lo, v21, v3, vcc_lo
	s_waitcnt lgkmcnt(2)
	global_store_dword v[5:6], v0, off
	global_store_dword v[7:8], v1, off
	s_waitcnt lgkmcnt(1)
	global_store_dword v[9:10], v11, off
	global_store_dword v[13:14], v12, off
	s_waitcnt lgkmcnt(0)
	global_store_dword v[2:3], v15, off
.LBB0_31:
	s_endpgm
	.section	.rodata,"a",@progbits
	.p2align	6, 0x0
	.amdhsa_kernel fft_rtc_fwd_len416_factors_13_2_16_wgs_64_tpt_32_half_op_CI_CI_unitstride_sbrr_C2R_dirReg
		.amdhsa_group_segment_fixed_size 0
		.amdhsa_private_segment_fixed_size 0
		.amdhsa_kernarg_size 104
		.amdhsa_user_sgpr_count 6
		.amdhsa_user_sgpr_private_segment_buffer 1
		.amdhsa_user_sgpr_dispatch_ptr 0
		.amdhsa_user_sgpr_queue_ptr 0
		.amdhsa_user_sgpr_kernarg_segment_ptr 1
		.amdhsa_user_sgpr_dispatch_id 0
		.amdhsa_user_sgpr_flat_scratch_init 0
		.amdhsa_user_sgpr_private_segment_size 0
		.amdhsa_wavefront_size32 1
		.amdhsa_uses_dynamic_stack 0
		.amdhsa_system_sgpr_private_segment_wavefront_offset 0
		.amdhsa_system_sgpr_workgroup_id_x 1
		.amdhsa_system_sgpr_workgroup_id_y 0
		.amdhsa_system_sgpr_workgroup_id_z 0
		.amdhsa_system_sgpr_workgroup_info 0
		.amdhsa_system_vgpr_workitem_id 0
		.amdhsa_next_free_vgpr 64
		.amdhsa_next_free_sgpr 27
		.amdhsa_reserve_vcc 1
		.amdhsa_reserve_flat_scratch 0
		.amdhsa_float_round_mode_32 0
		.amdhsa_float_round_mode_16_64 0
		.amdhsa_float_denorm_mode_32 3
		.amdhsa_float_denorm_mode_16_64 3
		.amdhsa_dx10_clamp 1
		.amdhsa_ieee_mode 1
		.amdhsa_fp16_overflow 0
		.amdhsa_workgroup_processor_mode 1
		.amdhsa_memory_ordered 1
		.amdhsa_forward_progress 0
		.amdhsa_shared_vgpr_count 0
		.amdhsa_exception_fp_ieee_invalid_op 0
		.amdhsa_exception_fp_denorm_src 0
		.amdhsa_exception_fp_ieee_div_zero 0
		.amdhsa_exception_fp_ieee_overflow 0
		.amdhsa_exception_fp_ieee_underflow 0
		.amdhsa_exception_fp_ieee_inexact 0
		.amdhsa_exception_int_div_zero 0
	.end_amdhsa_kernel
	.text
.Lfunc_end0:
	.size	fft_rtc_fwd_len416_factors_13_2_16_wgs_64_tpt_32_half_op_CI_CI_unitstride_sbrr_C2R_dirReg, .Lfunc_end0-fft_rtc_fwd_len416_factors_13_2_16_wgs_64_tpt_32_half_op_CI_CI_unitstride_sbrr_C2R_dirReg
                                        ; -- End function
	.section	.AMDGPU.csdata,"",@progbits
; Kernel info:
; codeLenInByte = 9904
; NumSgprs: 29
; NumVgprs: 64
; ScratchSize: 0
; MemoryBound: 0
; FloatMode: 240
; IeeeMode: 1
; LDSByteSize: 0 bytes/workgroup (compile time only)
; SGPRBlocks: 3
; VGPRBlocks: 7
; NumSGPRsForWavesPerEU: 29
; NumVGPRsForWavesPerEU: 64
; Occupancy: 16
; WaveLimiterHint : 1
; COMPUTE_PGM_RSRC2:SCRATCH_EN: 0
; COMPUTE_PGM_RSRC2:USER_SGPR: 6
; COMPUTE_PGM_RSRC2:TRAP_HANDLER: 0
; COMPUTE_PGM_RSRC2:TGID_X_EN: 1
; COMPUTE_PGM_RSRC2:TGID_Y_EN: 0
; COMPUTE_PGM_RSRC2:TGID_Z_EN: 0
; COMPUTE_PGM_RSRC2:TIDIG_COMP_CNT: 0
	.text
	.p2alignl 6, 3214868480
	.fill 48, 4, 3214868480
	.type	__hip_cuid_acc4c60d2578966c,@object ; @__hip_cuid_acc4c60d2578966c
	.section	.bss,"aw",@nobits
	.globl	__hip_cuid_acc4c60d2578966c
__hip_cuid_acc4c60d2578966c:
	.byte	0                               ; 0x0
	.size	__hip_cuid_acc4c60d2578966c, 1

	.ident	"AMD clang version 19.0.0git (https://github.com/RadeonOpenCompute/llvm-project roc-6.4.0 25133 c7fe45cf4b819c5991fe208aaa96edf142730f1d)"
	.section	".note.GNU-stack","",@progbits
	.addrsig
	.addrsig_sym __hip_cuid_acc4c60d2578966c
	.amdgpu_metadata
---
amdhsa.kernels:
  - .args:
      - .actual_access:  read_only
        .address_space:  global
        .offset:         0
        .size:           8
        .value_kind:     global_buffer
      - .offset:         8
        .size:           8
        .value_kind:     by_value
      - .actual_access:  read_only
        .address_space:  global
        .offset:         16
        .size:           8
        .value_kind:     global_buffer
      - .actual_access:  read_only
        .address_space:  global
        .offset:         24
        .size:           8
        .value_kind:     global_buffer
      - .actual_access:  read_only
        .address_space:  global
        .offset:         32
        .size:           8
        .value_kind:     global_buffer
      - .offset:         40
        .size:           8
        .value_kind:     by_value
      - .actual_access:  read_only
        .address_space:  global
        .offset:         48
        .size:           8
        .value_kind:     global_buffer
      - .actual_access:  read_only
        .address_space:  global
        .offset:         56
        .size:           8
        .value_kind:     global_buffer
      - .offset:         64
        .size:           4
        .value_kind:     by_value
      - .actual_access:  read_only
        .address_space:  global
        .offset:         72
        .size:           8
        .value_kind:     global_buffer
      - .actual_access:  read_only
        .address_space:  global
        .offset:         80
        .size:           8
        .value_kind:     global_buffer
      - .actual_access:  read_only
        .address_space:  global
        .offset:         88
        .size:           8
        .value_kind:     global_buffer
      - .actual_access:  write_only
        .address_space:  global
        .offset:         96
        .size:           8
        .value_kind:     global_buffer
    .group_segment_fixed_size: 0
    .kernarg_segment_align: 8
    .kernarg_segment_size: 104
    .language:       OpenCL C
    .language_version:
      - 2
      - 0
    .max_flat_workgroup_size: 64
    .name:           fft_rtc_fwd_len416_factors_13_2_16_wgs_64_tpt_32_half_op_CI_CI_unitstride_sbrr_C2R_dirReg
    .private_segment_fixed_size: 0
    .sgpr_count:     29
    .sgpr_spill_count: 0
    .symbol:         fft_rtc_fwd_len416_factors_13_2_16_wgs_64_tpt_32_half_op_CI_CI_unitstride_sbrr_C2R_dirReg.kd
    .uniform_work_group_size: 1
    .uses_dynamic_stack: false
    .vgpr_count:     64
    .vgpr_spill_count: 0
    .wavefront_size: 32
    .workgroup_processor_mode: 1
amdhsa.target:   amdgcn-amd-amdhsa--gfx1030
amdhsa.version:
  - 1
  - 2
...

	.end_amdgpu_metadata
